;; amdgpu-corpus repo=ROCm/vllm kind=compiled arch=gfx1250 opt=O3
	.amdgcn_target "amdgcn-amd-amdhsa--gfx1250"
	.amdhsa_code_object_version 6
	.text
	.protected	_Z19permute_cols_kernelPK15HIP_vector_typeIiLj4EEPKiPS0_iii ; -- Begin function _Z19permute_cols_kernelPK15HIP_vector_typeIiLj4EEPKiPS0_iii
	.globl	_Z19permute_cols_kernelPK15HIP_vector_typeIiLj4EEPKiPS0_iii
	.p2align	8
	.type	_Z19permute_cols_kernelPK15HIP_vector_typeIiLj4EEPKiPS0_iii,@function
_Z19permute_cols_kernelPK15HIP_vector_typeIiLj4EEPKiPS0_iii: ; @_Z19permute_cols_kernelPK15HIP_vector_typeIiLj4EEPKiPS0_iii
; %bb.0:
	s_load_b96 s[4:6], s[0:1], 0x18
	s_bfe_u32 s2, ttmp6, 0x4000c
	s_and_b32 s3, ttmp6, 15
	s_add_co_i32 s2, s2, 1
	s_getreg_b32 s7, hwreg(HW_REG_IB_STS2, 6, 4)
	s_mul_i32 s2, ttmp9, s2
	s_mov_b32 s14, 0
	s_add_co_i32 s3, s3, s2
	s_cmp_eq_u32 s7, 0
	s_cselect_b32 s2, ttmp9, s3
	s_wait_kmcnt 0x0
	s_mul_i32 s12, s6, s2
	s_delay_alu instid0(SALU_CYCLE_1) | instskip(NEXT) | instid1(SALU_CYCLE_1)
	s_add_co_i32 s2, s12, s6
	s_min_i32 s2, s2, s4
	s_delay_alu instid0(SALU_CYCLE_1) | instskip(NEXT) | instid1(SALU_CYCLE_1)
	s_sub_co_i32 s13, s2, s12
	s_cmp_lt_i32 s13, 1
	s_cbranch_scc1 .LBB0_15
; %bb.1:
	s_ashr_i32 s2, s5, 31
	s_ashr_i32 s15, s5, 3
	s_lshr_b32 s2, s2, 24
	v_mov_b32_e32 v1, v0
	s_add_co_i32 s2, s5, s2
	s_delay_alu instid0(SALU_CYCLE_1)
	s_and_b32 s3, s2, 0xffffff00
	s_ashr_i32 s16, s2, 8
	s_sub_co_i32 s8, s5, s3
	s_cmp_gt_i32 s5, 0xff
	s_clause 0x1
	s_load_b128 s[4:7], s[0:1], 0x0
	s_load_b64 s[2:3], s[0:1], 0x10
	s_wait_xcnt 0x0
	s_cselect_b32 s1, -1, 0
	s_add_co_i32 s9, s16, -1
	s_cmp_gt_u32 s16, 15
	v_lshl_add_u32 v2, s9, 8, v0
	v_cmp_gt_u32_e64 s0, s8, v0
	s_cselect_b32 s8, -1, 0
	s_cmp_gt_u32 s9, 0xffffff
	v_cmp_lt_i32_e32 vcc_lo, v2, v0
	s_cselect_b32 s9, -1, 0
	s_and_b32 s17, s16, 0x7ffffe
	s_delay_alu instid0(SALU_CYCLE_1) | instskip(SKIP_1) | instid1(SALU_CYCLE_1)
	s_lshl_b32 s18, s17, 8
	s_or_b32 s9, vcc_lo, s9
	s_xor_b32 s9, s9, -1
	s_cmp_lg_u32 s16, s17
	s_cselect_b32 s19, -1, 0
	s_and_b32 s20, s8, s9
	s_branch .LBB0_3
.LBB0_2:                                ;   in Loop: Header=BB0_3 Depth=1
	s_wait_xcnt 0x0
	s_or_b32 exec_lo, exec_lo, s21
	s_add_co_i32 s14, s14, 1
	s_delay_alu instid0(SALU_CYCLE_1)
	s_cmp_le_i32 s13, s14
	s_cbranch_scc1 .LBB0_15
.LBB0_3:                                ; =>This Loop Header: Depth=1
                                        ;     Child Loop BB0_7 Depth 2
                                        ;     Child Loop BB0_11 Depth 2
	s_add_co_i32 s8, s14, s12
	v_mov_b32_e32 v4, 0
	s_mul_i32 s8, s8, s15
	s_and_not1_b32 vcc_lo, exec_lo, s1
	s_ashr_i32 s9, s8, 31
	s_delay_alu instid0(SALU_CYCLE_1)
	s_lshl_b64 s[10:11], s[8:9], 4
	s_wait_kmcnt 0x0
	s_add_nc_u64 s[8:9], s[4:5], s[10:11]
	s_add_nc_u64 s[10:11], s[2:3], s[10:11]
	s_cbranch_vccz .LBB0_5
; %bb.4:                                ;   in Loop: Header=BB0_3 Depth=1
	s_and_saveexec_b32 s21, s0
	s_cbranch_execz .LBB0_2
	s_branch .LBB0_14
.LBB0_5:                                ;   in Loop: Header=BB0_3 Depth=1
	v_dual_mov_b32 v3, 0 :: v_dual_mov_b32 v2, 0
	s_mov_b32 s22, -1
	s_and_saveexec_b32 s21, s20
	s_cbranch_execz .LBB0_9
; %bb.6:                                ;   in Loop: Header=BB0_3 Depth=1
	s_movk_i32 s22, 0x100
	s_mov_b32 s23, 0
	s_mov_b32 s24, s17
.LBB0_7:                                ;   Parent Loop BB0_3 Depth=1
                                        ; =>  This Inner Loop Header: Depth=2
	s_wait_xcnt 0x0
	v_dual_add_nc_u32 v2, s23, v0 :: v_dual_add_nc_u32 v3, s22, v1
	s_add_co_i32 s24, s24, -2
	s_addk_co_i32 s23, 0x200
	s_addk_co_i32 s22, 0x200
	s_clause 0x1
	global_load_b32 v4, v2, s[6:7] scale_offset
	global_load_b32 v5, v3, s[6:7] scale_offset
	s_cmp_lg_u32 s24, 0
	s_wait_loadcnt 0x1
	global_load_u16 v6, v4, s[8:9] scale_offset
	s_wait_loadcnt 0x1
	global_load_u16 v7, v5, s[8:9] scale_offset
	s_wait_loadcnt 0x1
	global_store_b16 v2, v6, s[10:11] scale_offset
	s_wait_loadcnt 0x0
	global_store_b16 v3, v7, s[10:11] scale_offset
	s_cbranch_scc1 .LBB0_7
; %bb.8:                                ;   in Loop: Header=BB0_3 Depth=1
	s_wait_xcnt 0x0
	v_dual_mov_b32 v3, s17 :: v_dual_mov_b32 v2, s18
	s_or_not1_b32 s22, s19, exec_lo
.LBB0_9:                                ;   in Loop: Header=BB0_3 Depth=1
	s_or_b32 exec_lo, exec_lo, s21
	v_mov_b32_e32 v4, s18
	s_and_saveexec_b32 s21, s22
	s_cbranch_execz .LBB0_13
; %bb.10:                               ;   in Loop: Header=BB0_3 Depth=1
	v_sub_nc_u32_e32 v3, s16, v3
	s_mov_b32 s22, 0
.LBB0_11:                               ;   Parent Loop BB0_3 Depth=1
                                        ; =>  This Inner Loop Header: Depth=2
	s_delay_alu instid0(VALU_DEP_1)
	v_dual_add_nc_u32 v4, v0, v2 :: v_dual_add_nc_u32 v3, -1, v3
	v_add_nc_u32_e32 v2, 0x100, v2
	global_load_b32 v5, v4, s[6:7] scale_offset
	v_cmp_eq_u32_e32 vcc_lo, 0, v3
	s_or_b32 s22, vcc_lo, s22
	s_wait_loadcnt 0x0
	global_load_u16 v5, v5, s[8:9] scale_offset
	s_wait_loadcnt 0x0
	global_store_b16 v4, v5, s[10:11] scale_offset
	s_wait_xcnt 0x0
	s_and_not1_b32 exec_lo, exec_lo, s22
	s_cbranch_execnz .LBB0_11
; %bb.12:                               ;   in Loop: Header=BB0_3 Depth=1
	s_or_b32 exec_lo, exec_lo, s22
	v_mov_b32_e32 v4, v2
.LBB0_13:                               ;   in Loop: Header=BB0_3 Depth=1
	s_or_b32 exec_lo, exec_lo, s21
	s_and_saveexec_b32 s21, s0
	s_cbranch_execz .LBB0_2
.LBB0_14:                               ;   in Loop: Header=BB0_3 Depth=1
	s_delay_alu instid0(VALU_DEP_1)
	v_add_nc_u32_e32 v2, v4, v0
	global_load_b32 v3, v2, s[6:7] scale_offset
	s_wait_loadcnt 0x0
	global_load_u16 v3, v3, s[8:9] scale_offset
	s_wait_loadcnt 0x0
	global_store_b16 v2, v3, s[10:11] scale_offset
	s_branch .LBB0_2
.LBB0_15:
	s_endpgm
	.section	.rodata,"a",@progbits
	.p2align	6, 0x0
	.amdhsa_kernel _Z19permute_cols_kernelPK15HIP_vector_typeIiLj4EEPKiPS0_iii
		.amdhsa_group_segment_fixed_size 0
		.amdhsa_private_segment_fixed_size 0
		.amdhsa_kernarg_size 36
		.amdhsa_user_sgpr_count 2
		.amdhsa_user_sgpr_dispatch_ptr 0
		.amdhsa_user_sgpr_queue_ptr 0
		.amdhsa_user_sgpr_kernarg_segment_ptr 1
		.amdhsa_user_sgpr_dispatch_id 0
		.amdhsa_user_sgpr_kernarg_preload_length 0
		.amdhsa_user_sgpr_kernarg_preload_offset 0
		.amdhsa_user_sgpr_private_segment_size 0
		.amdhsa_wavefront_size32 1
		.amdhsa_uses_dynamic_stack 0
		.amdhsa_enable_private_segment 0
		.amdhsa_system_sgpr_workgroup_id_x 1
		.amdhsa_system_sgpr_workgroup_id_y 0
		.amdhsa_system_sgpr_workgroup_id_z 0
		.amdhsa_system_sgpr_workgroup_info 0
		.amdhsa_system_vgpr_workitem_id 0
		.amdhsa_next_free_vgpr 8
		.amdhsa_next_free_sgpr 25
		.amdhsa_named_barrier_count 0
		.amdhsa_reserve_vcc 1
		.amdhsa_float_round_mode_32 0
		.amdhsa_float_round_mode_16_64 0
		.amdhsa_float_denorm_mode_32 3
		.amdhsa_float_denorm_mode_16_64 3
		.amdhsa_fp16_overflow 0
		.amdhsa_memory_ordered 1
		.amdhsa_forward_progress 1
		.amdhsa_inst_pref_size 6
		.amdhsa_round_robin_scheduling 0
		.amdhsa_exception_fp_ieee_invalid_op 0
		.amdhsa_exception_fp_denorm_src 0
		.amdhsa_exception_fp_ieee_div_zero 0
		.amdhsa_exception_fp_ieee_overflow 0
		.amdhsa_exception_fp_ieee_underflow 0
		.amdhsa_exception_fp_ieee_inexact 0
		.amdhsa_exception_int_div_zero 0
	.end_amdhsa_kernel
	.text
.Lfunc_end0:
	.size	_Z19permute_cols_kernelPK15HIP_vector_typeIiLj4EEPKiPS0_iii, .Lfunc_end0-_Z19permute_cols_kernelPK15HIP_vector_typeIiLj4EEPKiPS0_iii
                                        ; -- End function
	.set _Z19permute_cols_kernelPK15HIP_vector_typeIiLj4EEPKiPS0_iii.num_vgpr, 8
	.set _Z19permute_cols_kernelPK15HIP_vector_typeIiLj4EEPKiPS0_iii.num_agpr, 0
	.set _Z19permute_cols_kernelPK15HIP_vector_typeIiLj4EEPKiPS0_iii.numbered_sgpr, 25
	.set _Z19permute_cols_kernelPK15HIP_vector_typeIiLj4EEPKiPS0_iii.num_named_barrier, 0
	.set _Z19permute_cols_kernelPK15HIP_vector_typeIiLj4EEPKiPS0_iii.private_seg_size, 0
	.set _Z19permute_cols_kernelPK15HIP_vector_typeIiLj4EEPKiPS0_iii.uses_vcc, 1
	.set _Z19permute_cols_kernelPK15HIP_vector_typeIiLj4EEPKiPS0_iii.uses_flat_scratch, 0
	.set _Z19permute_cols_kernelPK15HIP_vector_typeIiLj4EEPKiPS0_iii.has_dyn_sized_stack, 0
	.set _Z19permute_cols_kernelPK15HIP_vector_typeIiLj4EEPKiPS0_iii.has_recursion, 0
	.set _Z19permute_cols_kernelPK15HIP_vector_typeIiLj4EEPKiPS0_iii.has_indirect_call, 0
	.section	.AMDGPU.csdata,"",@progbits
; Kernel info:
; codeLenInByte = 692
; TotalNumSgprs: 27
; NumVgprs: 8
; ScratchSize: 0
; MemoryBound: 0
; FloatMode: 240
; IeeeMode: 1
; LDSByteSize: 0 bytes/workgroup (compile time only)
; SGPRBlocks: 0
; VGPRBlocks: 0
; NumSGPRsForWavesPerEU: 27
; NumVGPRsForWavesPerEU: 8
; NamedBarCnt: 0
; Occupancy: 16
; WaveLimiterHint : 1
; COMPUTE_PGM_RSRC2:SCRATCH_EN: 0
; COMPUTE_PGM_RSRC2:USER_SGPR: 2
; COMPUTE_PGM_RSRC2:TRAP_HANDLER: 0
; COMPUTE_PGM_RSRC2:TGID_X_EN: 1
; COMPUTE_PGM_RSRC2:TGID_Y_EN: 0
; COMPUTE_PGM_RSRC2:TGID_Z_EN: 0
; COMPUTE_PGM_RSRC2:TIDIG_COMP_CNT: 0
	.text
	.p2alignl 7, 3214868480
	.fill 96, 4, 3214868480
	.section	.AMDGPU.gpr_maximums,"",@progbits
	.set amdgpu.max_num_vgpr, 0
	.set amdgpu.max_num_agpr, 0
	.set amdgpu.max_num_sgpr, 0
	.text
	.type	__hip_cuid_3a6cee6dfbdf3059,@object ; @__hip_cuid_3a6cee6dfbdf3059
	.section	.bss,"aw",@nobits
	.globl	__hip_cuid_3a6cee6dfbdf3059
__hip_cuid_3a6cee6dfbdf3059:
	.byte	0                               ; 0x0
	.size	__hip_cuid_3a6cee6dfbdf3059, 1

	.ident	"AMD clang version 22.0.0git (https://github.com/RadeonOpenCompute/llvm-project roc-7.2.4 26084 f58b06dce1f9c15707c5f808fd002e18c2accf7e)"
	.section	".note.GNU-stack","",@progbits
	.addrsig
	.addrsig_sym __hip_cuid_3a6cee6dfbdf3059
	.amdgpu_metadata
---
amdhsa.kernels:
  - .args:
      - .actual_access:  read_only
        .address_space:  global
        .offset:         0
        .size:           8
        .value_kind:     global_buffer
      - .actual_access:  read_only
        .address_space:  global
        .offset:         8
        .size:           8
        .value_kind:     global_buffer
      - .actual_access:  write_only
        .address_space:  global
        .offset:         16
        .size:           8
        .value_kind:     global_buffer
      - .offset:         24
        .size:           4
        .value_kind:     by_value
      - .offset:         28
        .size:           4
        .value_kind:     by_value
      - .offset:         32
        .size:           4
        .value_kind:     by_value
    .group_segment_fixed_size: 0
    .kernarg_segment_align: 8
    .kernarg_segment_size: 36
    .language:       OpenCL C
    .language_version:
      - 2
      - 0
    .max_flat_workgroup_size: 1024
    .name:           _Z19permute_cols_kernelPK15HIP_vector_typeIiLj4EEPKiPS0_iii
    .private_segment_fixed_size: 0
    .sgpr_count:     27
    .sgpr_spill_count: 0
    .symbol:         _Z19permute_cols_kernelPK15HIP_vector_typeIiLj4EEPKiPS0_iii.kd
    .uniform_work_group_size: 1
    .uses_dynamic_stack: false
    .vgpr_count:     8
    .vgpr_spill_count: 0
    .wavefront_size: 32
amdhsa.target:   amdgcn-amd-amdhsa--gfx1250
amdhsa.version:
  - 1
  - 2
...

	.end_amdgpu_metadata
